;; amdgpu-corpus repo=ROCm/rocFFT kind=compiled arch=gfx1030 opt=O3
	.text
	.amdgcn_target "amdgcn-amd-amdhsa--gfx1030"
	.amdhsa_code_object_version 6
	.protected	fft_rtc_fwd_len1188_factors_6_11_2_3_3_wgs_198_tpt_66_halfLds_sp_op_CI_CI_unitstride_sbrr_C2R_dirReg ; -- Begin function fft_rtc_fwd_len1188_factors_6_11_2_3_3_wgs_198_tpt_66_halfLds_sp_op_CI_CI_unitstride_sbrr_C2R_dirReg
	.globl	fft_rtc_fwd_len1188_factors_6_11_2_3_3_wgs_198_tpt_66_halfLds_sp_op_CI_CI_unitstride_sbrr_C2R_dirReg
	.p2align	8
	.type	fft_rtc_fwd_len1188_factors_6_11_2_3_3_wgs_198_tpt_66_halfLds_sp_op_CI_CI_unitstride_sbrr_C2R_dirReg,@function
fft_rtc_fwd_len1188_factors_6_11_2_3_3_wgs_198_tpt_66_halfLds_sp_op_CI_CI_unitstride_sbrr_C2R_dirReg: ; @fft_rtc_fwd_len1188_factors_6_11_2_3_3_wgs_198_tpt_66_halfLds_sp_op_CI_CI_unitstride_sbrr_C2R_dirReg
; %bb.0:
	s_load_dwordx4 s[12:15], s[4:5], 0x0
	v_mul_u32_u24_e32 v1, 0x3e1, v0
	s_clause 0x1
	s_load_dwordx4 s[8:11], s[4:5], 0x58
	s_load_dwordx4 s[16:19], s[4:5], 0x18
	v_mov_b32_e32 v5, 0
	v_lshrrev_b32_e32 v3, 16, v1
	v_mov_b32_e32 v1, 0
	v_mov_b32_e32 v2, 0
	v_mad_u64_u32 v[3:4], null, s6, 3, v[3:4]
	v_mov_b32_e32 v4, v5
	v_mov_b32_e32 v49, v2
	;; [unrolled: 1-line block ×5, first 2 shown]
	s_waitcnt lgkmcnt(0)
	v_cmp_lt_u64_e64 s0, s[14:15], 2
	s_and_b32 vcc_lo, exec_lo, s0
	s_cbranch_vccnz .LBB0_8
; %bb.1:
	s_load_dwordx2 s[0:1], s[4:5], 0x10
	v_mov_b32_e32 v1, 0
	v_mov_b32_e32 v2, 0
	s_add_u32 s2, s18, 8
	v_mov_b32_e32 v8, v4
	s_addc_u32 s3, s19, 0
	v_mov_b32_e32 v7, v3
	v_mov_b32_e32 v49, v2
	s_add_u32 s6, s16, 8
	v_mov_b32_e32 v48, v1
	s_addc_u32 s7, s17, 0
	s_mov_b64 s[22:23], 1
	s_waitcnt lgkmcnt(0)
	s_add_u32 s20, s0, 8
	s_addc_u32 s21, s1, 0
.LBB0_2:                                ; =>This Inner Loop Header: Depth=1
	s_load_dwordx2 s[24:25], s[20:21], 0x0
                                        ; implicit-def: $vgpr52_vgpr53
	s_mov_b32 s0, exec_lo
	s_waitcnt lgkmcnt(0)
	v_or_b32_e32 v6, s25, v8
	v_cmpx_ne_u64_e32 0, v[5:6]
	s_xor_b32 s1, exec_lo, s0
	s_cbranch_execz .LBB0_4
; %bb.3:                                ;   in Loop: Header=BB0_2 Depth=1
	v_cvt_f32_u32_e32 v4, s24
	v_cvt_f32_u32_e32 v6, s25
	s_sub_u32 s0, 0, s24
	s_subb_u32 s26, 0, s25
	v_fmac_f32_e32 v4, 0x4f800000, v6
	v_rcp_f32_e32 v4, v4
	v_mul_f32_e32 v4, 0x5f7ffffc, v4
	v_mul_f32_e32 v6, 0x2f800000, v4
	v_trunc_f32_e32 v6, v6
	v_fmac_f32_e32 v4, 0xcf800000, v6
	v_cvt_u32_f32_e32 v6, v6
	v_cvt_u32_f32_e32 v4, v4
	v_mul_lo_u32 v9, s0, v6
	v_mul_hi_u32 v10, s0, v4
	v_mul_lo_u32 v11, s26, v4
	v_add_nc_u32_e32 v9, v10, v9
	v_mul_lo_u32 v10, s0, v4
	v_add_nc_u32_e32 v9, v9, v11
	v_mul_hi_u32 v11, v4, v10
	v_mul_lo_u32 v12, v4, v9
	v_mul_hi_u32 v13, v4, v9
	v_mul_hi_u32 v14, v6, v10
	v_mul_lo_u32 v10, v6, v10
	v_mul_hi_u32 v15, v6, v9
	v_mul_lo_u32 v9, v6, v9
	v_add_co_u32 v11, vcc_lo, v11, v12
	v_add_co_ci_u32_e32 v12, vcc_lo, 0, v13, vcc_lo
	v_add_co_u32 v10, vcc_lo, v11, v10
	v_add_co_ci_u32_e32 v10, vcc_lo, v12, v14, vcc_lo
	v_add_co_ci_u32_e32 v11, vcc_lo, 0, v15, vcc_lo
	v_add_co_u32 v9, vcc_lo, v10, v9
	v_add_co_ci_u32_e32 v10, vcc_lo, 0, v11, vcc_lo
	v_add_co_u32 v4, vcc_lo, v4, v9
	v_add_co_ci_u32_e32 v6, vcc_lo, v6, v10, vcc_lo
	v_mul_hi_u32 v9, s0, v4
	v_mul_lo_u32 v11, s26, v4
	v_mul_lo_u32 v10, s0, v6
	v_add_nc_u32_e32 v9, v9, v10
	v_mul_lo_u32 v10, s0, v4
	v_add_nc_u32_e32 v9, v9, v11
	v_mul_hi_u32 v11, v4, v10
	v_mul_lo_u32 v12, v4, v9
	v_mul_hi_u32 v13, v4, v9
	v_mul_hi_u32 v14, v6, v10
	v_mul_lo_u32 v10, v6, v10
	v_mul_hi_u32 v15, v6, v9
	v_mul_lo_u32 v9, v6, v9
	v_add_co_u32 v11, vcc_lo, v11, v12
	v_add_co_ci_u32_e32 v12, vcc_lo, 0, v13, vcc_lo
	v_add_co_u32 v10, vcc_lo, v11, v10
	v_add_co_ci_u32_e32 v10, vcc_lo, v12, v14, vcc_lo
	v_add_co_ci_u32_e32 v11, vcc_lo, 0, v15, vcc_lo
	v_add_co_u32 v9, vcc_lo, v10, v9
	v_add_co_ci_u32_e32 v10, vcc_lo, 0, v11, vcc_lo
	v_add_co_u32 v4, vcc_lo, v4, v9
	v_add_co_ci_u32_e32 v6, vcc_lo, v6, v10, vcc_lo
	v_mul_hi_u32 v15, v7, v4
	v_mad_u64_u32 v[11:12], null, v8, v4, 0
	v_mad_u64_u32 v[9:10], null, v7, v6, 0
	;; [unrolled: 1-line block ×3, first 2 shown]
	v_add_co_u32 v4, vcc_lo, v15, v9
	v_add_co_ci_u32_e32 v6, vcc_lo, 0, v10, vcc_lo
	v_add_co_u32 v4, vcc_lo, v4, v11
	v_add_co_ci_u32_e32 v4, vcc_lo, v6, v12, vcc_lo
	v_add_co_ci_u32_e32 v6, vcc_lo, 0, v14, vcc_lo
	v_add_co_u32 v4, vcc_lo, v4, v13
	v_add_co_ci_u32_e32 v6, vcc_lo, 0, v6, vcc_lo
	v_mul_lo_u32 v11, s25, v4
	v_mad_u64_u32 v[9:10], null, s24, v4, 0
	v_mul_lo_u32 v12, s24, v6
	v_sub_co_u32 v9, vcc_lo, v7, v9
	v_add3_u32 v10, v10, v12, v11
	v_sub_nc_u32_e32 v11, v8, v10
	v_subrev_co_ci_u32_e64 v11, s0, s25, v11, vcc_lo
	v_add_co_u32 v12, s0, v4, 2
	v_add_co_ci_u32_e64 v13, s0, 0, v6, s0
	v_sub_co_u32 v14, s0, v9, s24
	v_sub_co_ci_u32_e32 v10, vcc_lo, v8, v10, vcc_lo
	v_subrev_co_ci_u32_e64 v11, s0, 0, v11, s0
	v_cmp_le_u32_e32 vcc_lo, s24, v14
	v_cmp_eq_u32_e64 s0, s25, v10
	v_cndmask_b32_e64 v14, 0, -1, vcc_lo
	v_cmp_le_u32_e32 vcc_lo, s25, v11
	v_cndmask_b32_e64 v15, 0, -1, vcc_lo
	v_cmp_le_u32_e32 vcc_lo, s24, v9
	;; [unrolled: 2-line block ×3, first 2 shown]
	v_cndmask_b32_e64 v16, 0, -1, vcc_lo
	v_cmp_eq_u32_e32 vcc_lo, s25, v11
	v_cndmask_b32_e64 v9, v16, v9, s0
	v_cndmask_b32_e32 v11, v15, v14, vcc_lo
	v_add_co_u32 v14, vcc_lo, v4, 1
	v_add_co_ci_u32_e32 v15, vcc_lo, 0, v6, vcc_lo
	v_cmp_ne_u32_e32 vcc_lo, 0, v11
	v_cndmask_b32_e32 v10, v15, v13, vcc_lo
	v_cndmask_b32_e32 v11, v14, v12, vcc_lo
	v_cmp_ne_u32_e32 vcc_lo, 0, v9
	v_cndmask_b32_e32 v53, v6, v10, vcc_lo
	v_cndmask_b32_e32 v52, v4, v11, vcc_lo
.LBB0_4:                                ;   in Loop: Header=BB0_2 Depth=1
	s_andn2_saveexec_b32 s0, s1
	s_cbranch_execz .LBB0_6
; %bb.5:                                ;   in Loop: Header=BB0_2 Depth=1
	v_cvt_f32_u32_e32 v4, s24
	s_sub_i32 s1, 0, s24
	v_mov_b32_e32 v53, v5
	v_rcp_iflag_f32_e32 v4, v4
	v_mul_f32_e32 v4, 0x4f7ffffe, v4
	v_cvt_u32_f32_e32 v4, v4
	v_mul_lo_u32 v6, s1, v4
	v_mul_hi_u32 v6, v4, v6
	v_add_nc_u32_e32 v4, v4, v6
	v_mul_hi_u32 v4, v7, v4
	v_mul_lo_u32 v6, v4, s24
	v_add_nc_u32_e32 v9, 1, v4
	v_sub_nc_u32_e32 v6, v7, v6
	v_subrev_nc_u32_e32 v10, s24, v6
	v_cmp_le_u32_e32 vcc_lo, s24, v6
	v_cndmask_b32_e32 v6, v6, v10, vcc_lo
	v_cndmask_b32_e32 v4, v4, v9, vcc_lo
	v_cmp_le_u32_e32 vcc_lo, s24, v6
	v_add_nc_u32_e32 v9, 1, v4
	v_cndmask_b32_e32 v52, v4, v9, vcc_lo
.LBB0_6:                                ;   in Loop: Header=BB0_2 Depth=1
	s_or_b32 exec_lo, exec_lo, s0
	v_mul_lo_u32 v4, v53, s24
	v_mul_lo_u32 v6, v52, s25
	s_load_dwordx2 s[0:1], s[6:7], 0x0
	v_mad_u64_u32 v[9:10], null, v52, s24, 0
	s_load_dwordx2 s[24:25], s[2:3], 0x0
	s_add_u32 s22, s22, 1
	s_addc_u32 s23, s23, 0
	s_add_u32 s2, s2, 8
	s_addc_u32 s3, s3, 0
	s_add_u32 s6, s6, 8
	v_add3_u32 v4, v10, v6, v4
	v_sub_co_u32 v6, vcc_lo, v7, v9
	s_addc_u32 s7, s7, 0
	s_add_u32 s20, s20, 8
	v_sub_co_ci_u32_e32 v4, vcc_lo, v8, v4, vcc_lo
	s_addc_u32 s21, s21, 0
	s_waitcnt lgkmcnt(0)
	v_mul_lo_u32 v7, s0, v4
	v_mul_lo_u32 v8, s1, v6
	v_mad_u64_u32 v[1:2], null, s0, v6, v[1:2]
	v_mul_lo_u32 v4, s24, v4
	v_mul_lo_u32 v9, s25, v6
	v_mad_u64_u32 v[48:49], null, s24, v6, v[48:49]
	v_cmp_ge_u64_e64 s0, s[22:23], s[14:15]
	v_add3_u32 v2, v8, v2, v7
	v_add3_u32 v49, v9, v49, v4
	s_and_b32 vcc_lo, exec_lo, s0
	s_cbranch_vccnz .LBB0_8
; %bb.7:                                ;   in Loop: Header=BB0_2 Depth=1
	v_mov_b32_e32 v7, v52
	v_mov_b32_e32 v8, v53
	s_branch .LBB0_2
.LBB0_8:
	s_load_dwordx2 s[0:1], s[4:5], 0x28
	v_mul_hi_u32 v4, 0xaaaaaaab, v3
	v_mul_hi_u32 v6, 0x3e0f83f, v0
	s_lshl_b64 s[4:5], s[14:15], 3
                                        ; implicit-def: $vgpr50
	s_add_u32 s2, s18, s4
	s_addc_u32 s3, s19, s5
	v_lshrrev_b32_e32 v4, 1, v4
	v_lshl_add_u32 v4, v4, 1, v4
	v_sub_nc_u32_e32 v5, v3, v4
	s_waitcnt lgkmcnt(0)
	v_cmp_gt_u64_e32 vcc_lo, s[0:1], v[52:53]
	v_cmp_le_u64_e64 s0, s[0:1], v[52:53]
                                        ; implicit-def: $vgpr3_vgpr4
	s_and_saveexec_b32 s1, s0
	s_xor_b32 s0, exec_lo, s1
; %bb.9:
	v_mul_u32_u24_e32 v1, 0x42, v6
	v_mov_b32_e32 v51, 0
                                        ; implicit-def: $vgpr6
	v_sub_nc_u32_e32 v50, v0, v1
                                        ; implicit-def: $vgpr0
                                        ; implicit-def: $vgpr1_vgpr2
	v_mov_b32_e32 v3, v50
	v_mov_b32_e32 v4, v51
; %bb.10:
	s_or_saveexec_b32 s1, s0
	s_load_dwordx2 s[2:3], s[2:3], 0x0
	v_mul_u32_u24_e32 v5, 0x4a5, v5
	v_lshlrev_b32_e32 v74, 3, v5
	s_xor_b32 exec_lo, exec_lo, s1
	s_cbranch_execz .LBB0_14
; %bb.11:
	s_add_u32 s4, s16, s4
	s_addc_u32 s5, s17, s5
	v_mul_u32_u24_e32 v6, 0x42, v6
	s_load_dwordx2 s[4:5], s[4:5], 0x0
	v_lshlrev_b64 v[1:2], 3, v[1:2]
	v_mov_b32_e32 v51, 0
	v_sub_nc_u32_e32 v50, v0, v6
	s_waitcnt lgkmcnt(0)
	v_mul_lo_u32 v7, s5, v52
	v_mul_lo_u32 v8, s4, v53
	v_mad_u64_u32 v[3:4], null, s4, v52, 0
	s_mov_b32 s4, exec_lo
	v_add3_u32 v4, v4, v8, v7
	v_lshlrev_b64 v[3:4], 3, v[3:4]
	v_add_co_u32 v0, s0, s8, v3
	v_add_co_ci_u32_e64 v3, s0, s9, v4, s0
	v_lshlrev_b32_e32 v4, 3, v50
	v_add_co_u32 v0, s0, v0, v1
	v_add_co_ci_u32_e64 v1, s0, v3, v2, s0
	v_add_co_u32 v2, s0, v0, v4
	v_add_co_ci_u32_e64 v3, s0, 0, v1, s0
	s_clause 0x3
	global_load_dwordx2 v[6:7], v[2:3], off
	global_load_dwordx2 v[8:9], v[2:3], off offset:528
	global_load_dwordx2 v[10:11], v[2:3], off offset:1056
	;; [unrolled: 1-line block ×3, first 2 shown]
	v_add_co_u32 v14, s0, 0x800, v2
	v_add_co_ci_u32_e64 v15, s0, 0, v3, s0
	v_add_co_u32 v16, s0, 0x1000, v2
	v_add_co_ci_u32_e64 v17, s0, 0, v3, s0
	;; [unrolled: 2-line block ×4, first 2 shown]
	s_clause 0xd
	global_load_dwordx2 v[20:21], v[14:15], off offset:64
	global_load_dwordx2 v[22:23], v[14:15], off offset:592
	global_load_dwordx2 v[24:25], v[14:15], off offset:1120
	global_load_dwordx2 v[14:15], v[14:15], off offset:1648
	global_load_dwordx2 v[26:27], v[16:17], off offset:128
	global_load_dwordx2 v[28:29], v[16:17], off offset:656
	global_load_dwordx2 v[30:31], v[16:17], off offset:1184
	global_load_dwordx2 v[16:17], v[16:17], off offset:1712
	global_load_dwordx2 v[32:33], v[18:19], off offset:192
	global_load_dwordx2 v[34:35], v[18:19], off offset:720
	global_load_dwordx2 v[36:37], v[18:19], off offset:1248
	global_load_dwordx2 v[18:19], v[18:19], off offset:1776
	global_load_dwordx2 v[38:39], v[2:3], off offset:256
	global_load_dwordx2 v[40:41], v[2:3], off offset:784
	v_add3_u32 v2, 0, v74, v4
	v_mov_b32_e32 v3, v50
	v_mov_b32_e32 v4, v51
	v_add_nc_u32_e32 v42, 0x800, v2
	v_add_nc_u32_e32 v43, 0x1000, v2
	v_add_nc_u32_e32 v44, 0x1800, v2
	v_add_nc_u32_e32 v45, 0x2000, v2
	s_waitcnt vmcnt(16)
	ds_write2_b64 v2, v[6:7], v[8:9] offset1:66
	s_waitcnt vmcnt(14)
	ds_write2_b64 v2, v[10:11], v[12:13] offset0:132 offset1:198
	s_waitcnt vmcnt(12)
	ds_write2_b64 v42, v[20:21], v[22:23] offset0:8 offset1:74
	;; [unrolled: 2-line block ×8, first 2 shown]
	v_cmpx_eq_u32_e32 0x41, v50
	s_cbranch_execz .LBB0_13
; %bb.12:
	v_add_co_u32 v0, s0, 0x2000, v0
	v_add_co_ci_u32_e64 v1, s0, 0, v1, s0
	v_mov_b32_e32 v3, 0x41
	v_mov_b32_e32 v4, 0
	;; [unrolled: 1-line block ×3, first 2 shown]
	global_load_dwordx2 v[0:1], v[0:1], off offset:1312
	s_waitcnt vmcnt(0)
	ds_write_b64 v2, v[0:1] offset:8984
.LBB0_13:
	s_or_b32 exec_lo, exec_lo, s4
.LBB0_14:
	s_or_b32 exec_lo, exec_lo, s1
	v_lshl_add_u32 v72, v5, 3, 0
	v_lshlrev_b32_e32 v0, 3, v50
	s_waitcnt lgkmcnt(0)
	s_barrier
	buffer_gl0_inv
	v_lshlrev_b64 v[54:55], 3, v[3:4]
	v_add_nc_u32_e32 v73, v72, v0
	v_sub_nc_u32_e32 v2, v72, v0
	s_add_u32 s1, s12, 0x24f0
	s_addc_u32 s4, s13, 0
	ds_read_b32 v5, v73
	ds_read_b32 v6, v2 offset:9504
	s_mov_b32 s5, exec_lo
	s_waitcnt lgkmcnt(0)
	v_add_f32_e32 v0, v6, v5
	v_sub_f32_e32 v1, v5, v6
	v_cmpx_ne_u32_e32 0, v50
	s_xor_b32 s5, exec_lo, s5
	s_cbranch_execz .LBB0_16
; %bb.15:
	v_add_co_u32 v0, s0, s1, v54
	v_add_co_ci_u32_e64 v1, s0, s4, v55, s0
	v_add_f32_e32 v7, v6, v5
	v_sub_f32_e32 v8, v5, v6
	global_load_dwordx2 v[3:4], v[0:1], off
	ds_read_b32 v0, v2 offset:9508
	ds_read_b32 v1, v73 offset:4
	s_waitcnt lgkmcnt(0)
	v_add_f32_e32 v9, v0, v1
	v_sub_f32_e32 v0, v1, v0
	s_waitcnt vmcnt(0)
	v_fma_f32 v5, -v8, v4, v7
	v_fma_f32 v6, v9, v4, -v0
	v_fma_f32 v10, v8, v4, v7
	v_fma_f32 v1, v9, v4, v0
	v_fmac_f32_e32 v5, v3, v9
	v_fmac_f32_e32 v6, v8, v3
	v_fma_f32 v0, -v3, v9, v10
	v_fmac_f32_e32 v1, v8, v3
	ds_write_b64 v2, v[5:6] offset:9504
.LBB0_16:
	s_andn2_saveexec_b32 s0, s5
	s_cbranch_execz .LBB0_18
; %bb.17:
	ds_read_b64 v[3:4], v72 offset:4752
	s_waitcnt lgkmcnt(0)
	v_add_f32_e32 v3, v3, v3
	v_mul_f32_e32 v4, -2.0, v4
	ds_write_b64 v72, v[3:4] offset:4752
.LBB0_18:
	s_or_b32 exec_lo, exec_lo, s0
	v_mov_b32_e32 v51, 0
	v_lshlrev_b64 v[3:4], 3, v[50:51]
	v_add_co_u32 v3, s0, s1, v3
	v_add_co_ci_u32_e64 v4, s0, s4, v4, s0
	s_clause 0x2
	global_load_dwordx2 v[5:6], v[3:4], off offset:528
	global_load_dwordx2 v[7:8], v[3:4], off offset:1056
	;; [unrolled: 1-line block ×3, first 2 shown]
	v_add_co_u32 v11, s0, 0x800, v3
	v_add_co_ci_u32_e64 v12, s0, 0, v4, s0
	s_clause 0x3
	global_load_dwordx2 v[13:14], v[11:12], off offset:64
	global_load_dwordx2 v[15:16], v[11:12], off offset:592
	;; [unrolled: 1-line block ×4, first 2 shown]
	v_add_co_u32 v3, s0, 0x1000, v3
	v_add_co_ci_u32_e64 v4, s0, 0, v4, s0
	ds_write_b64 v73, v[0:1]
	ds_read_b64 v[0:1], v73 offset:528
	ds_read_b64 v[19:20], v2 offset:8976
	v_cmp_gt_u32_e64 s0, 42, v50
	global_load_dwordx2 v[3:4], v[3:4], off offset:128
	s_waitcnt lgkmcnt(0)
	v_add_f32_e32 v21, v0, v19
	v_add_f32_e32 v22, v20, v1
	v_sub_f32_e32 v23, v0, v19
	v_sub_f32_e32 v0, v1, v20
	s_waitcnt vmcnt(7)
	v_fma_f32 v24, v23, v6, v21
	v_fma_f32 v1, v22, v6, v0
	v_fma_f32 v19, -v23, v6, v21
	v_fma_f32 v20, v22, v6, -v0
	v_fma_f32 v0, -v5, v22, v24
	v_fmac_f32_e32 v1, v23, v5
	v_fmac_f32_e32 v19, v5, v22
	v_fmac_f32_e32 v20, v23, v5
	ds_write_b64 v73, v[0:1] offset:528
	ds_write_b64 v2, v[19:20] offset:8976
	ds_read_b64 v[0:1], v73 offset:1056
	ds_read_b64 v[5:6], v2 offset:8448
	s_waitcnt lgkmcnt(0)
	v_add_f32_e32 v19, v0, v5
	v_add_f32_e32 v20, v6, v1
	v_sub_f32_e32 v21, v0, v5
	v_sub_f32_e32 v0, v1, v6
	s_waitcnt vmcnt(6)
	v_fma_f32 v22, v21, v8, v19
	v_fma_f32 v1, v20, v8, v0
	v_fma_f32 v5, -v21, v8, v19
	v_fma_f32 v6, v20, v8, -v0
	v_fma_f32 v0, -v7, v20, v22
	v_fmac_f32_e32 v1, v21, v7
	v_fmac_f32_e32 v5, v7, v20
	v_fmac_f32_e32 v6, v21, v7
	ds_write_b64 v73, v[0:1] offset:1056
	ds_write_b64 v2, v[5:6] offset:8448
	ds_read_b64 v[0:1], v73 offset:1584
	ds_read_b64 v[5:6], v2 offset:7920
	;; [unrolled: 18-line block ×6, first 2 shown]
	s_waitcnt lgkmcnt(0)
	v_add_f32_e32 v7, v0, v5
	v_add_f32_e32 v8, v6, v1
	v_sub_f32_e32 v9, v0, v5
	v_sub_f32_e32 v0, v1, v6
	s_waitcnt vmcnt(1)
	v_fma_f32 v10, v9, v12, v7
	v_fma_f32 v1, v8, v12, v0
	v_fma_f32 v5, -v9, v12, v7
	v_fma_f32 v6, v8, v12, -v0
	v_lshl_add_u32 v7, v50, 3, 0
	v_fma_f32 v0, -v11, v8, v10
	v_fmac_f32_e32 v1, v9, v11
	v_fmac_f32_e32 v5, v11, v8
	;; [unrolled: 1-line block ×3, first 2 shown]
	ds_write_b64 v73, v[0:1] offset:3696
	ds_write_b64 v2, v[5:6] offset:5808
	ds_read_b64 v[0:1], v73 offset:4224
	ds_read_b64 v[5:6], v2 offset:5280
	v_add_nc_u32_e32 v51, v7, v74
	v_mul_u32_u24_e32 v8, 6, v50
	v_add_nc_u32_e32 v10, 0x400, v51
	v_lshlrev_b32_e32 v8, 3, v8
	v_add_nc_u32_e32 v41, 0x1000, v51
	v_add3_u32 v42, 0, v8, v74
	v_add_nc_u32_e32 v43, 0xc60, v42
	v_add_nc_u32_e32 v44, 0xc80, v42
	;; [unrolled: 1-line block ×3, first 2 shown]
	s_waitcnt lgkmcnt(0)
	v_add_f32_e32 v7, v0, v5
	v_add_f32_e32 v9, v6, v1
	v_sub_f32_e32 v5, v0, v5
	v_sub_f32_e32 v0, v1, v6
	v_add_nc_u32_e32 v46, 0x18d0, v42
	v_add_nc_u32_e32 v47, 0x18e0, v42
	s_waitcnt vmcnt(0)
	v_fma_f32 v11, v5, v4, v7
	v_fma_f32 v1, v9, v4, v0
	v_fma_f32 v6, -v5, v4, v7
	v_fma_f32 v7, v9, v4, -v0
	v_add_nc_u32_e32 v4, 0x1c00, v51
	v_fma_f32 v0, -v3, v9, v11
	v_fmac_f32_e32 v1, v5, v3
	v_fmac_f32_e32 v6, v3, v9
	;; [unrolled: 1-line block ×3, first 2 shown]
	ds_write_b64 v73, v[0:1] offset:4224
	ds_write_b64 v2, v[6:7] offset:5280
	v_add_nc_u32_e32 v6, 0x800, v51
	v_add_nc_u32_e32 v5, 0xc00, v51
	;; [unrolled: 1-line block ×4, first 2 shown]
	s_waitcnt lgkmcnt(0)
	s_barrier
	buffer_gl0_inv
	s_barrier
	buffer_gl0_inv
	ds_read2_b64 v[7:10], v10 offset0:70 offset1:136
	ds_read2_b64 v[11:14], v41 offset0:82 offset1:148
	;; [unrolled: 1-line block ×8, first 2 shown]
	ds_read_b64 v[0:1], v73
	ds_read_b64 v[39:40], v51 offset:8976
	v_add_nc_u32_e32 v3, 0xc70, v42
	s_waitcnt lgkmcnt(0)
	s_barrier
	buffer_gl0_inv
	v_add_f32_e32 v56, v7, v11
	v_add_f32_e32 v57, v11, v15
	v_sub_f32_e32 v58, v12, v16
	v_add_f32_e32 v59, v8, v12
	v_add_f32_e32 v12, v12, v16
	;; [unrolled: 1-line block ×3, first 2 shown]
	v_sub_f32_e32 v78, v34, v38
	v_add_f32_e32 v34, v34, v38
	v_add_f32_e32 v65, v13, v17
	v_sub_f32_e32 v66, v14, v18
	v_add_f32_e32 v67, v10, v14
	v_add_f32_e32 v14, v14, v18
	;; [unrolled: 3-line block ×4, first 2 shown]
	v_add_f32_e32 v64, v9, v13
	v_add_f32_e32 v71, v22, v26
	;; [unrolled: 1-line block ×4, first 2 shown]
	v_sub_f32_e32 v33, v33, v37
	v_add_f32_e32 v80, v35, v39
	v_sub_f32_e32 v81, v36, v40
	v_add_f32_e32 v82, v32, v36
	v_add_f32_e32 v36, v36, v40
	;; [unrolled: 1-line block ×3, first 2 shown]
	v_fma_f32 v56, -0.5, v57, v7
	v_fma_f32 v57, -0.5, v12, v8
	v_fmac_f32_e32 v1, -0.5, v34
	v_sub_f32_e32 v70, v26, v30
	v_add_f32_e32 v26, v26, v30
	v_sub_f32_e32 v13, v13, v17
	v_add_f32_e32 v68, v21, v25
	v_add_f32_e32 v79, v31, v35
	v_fmac_f32_e32 v10, -0.5, v14
	v_fma_f32 v9, -0.5, v65, v9
	v_sub_f32_e32 v23, v23, v27
	v_add_f32_e32 v69, v25, v29
	v_sub_f32_e32 v35, v35, v39
	v_add_f32_e32 v16, v59, v16
	v_add_f32_e32 v17, v64, v17
	;; [unrolled: 1-line block ×9, first 2 shown]
	v_fma_f32 v34, -0.5, v61, v19
	v_fma_f32 v63, -0.5, v24, v20
	;; [unrolled: 1-line block ×3, first 2 shown]
	v_fmac_f32_e32 v32, -0.5, v36
	v_fmamk_f32 v31, v33, 0xbf5db3d7, v1
	v_fmac_f32_e32 v1, 0x3f5db3d7, v33
	v_fmamk_f32 v33, v58, 0x3f5db3d7, v56
	v_fmamk_f32 v36, v11, 0xbf5db3d7, v57
	v_sub_f32_e32 v25, v25, v29
	v_fmac_f32_e32 v22, -0.5, v26
	v_fmac_f32_e32 v56, 0xbf5db3d7, v58
	v_fmac_f32_e32 v57, 0x3f5db3d7, v11
	v_add_f32_e32 v29, v68, v29
	v_add_f32_e32 v39, v79, v39
	v_fmamk_f32 v20, v66, 0x3f5db3d7, v9
	v_fmamk_f32 v24, v13, 0xbf5db3d7, v10
	v_fmac_f32_e32 v9, 0xbf5db3d7, v66
	v_fmac_f32_e32 v10, 0x3f5db3d7, v13
	v_fma_f32 v0, -0.5, v76, v0
	v_fma_f32 v21, -0.5, v69, v21
	v_add_f32_e32 v7, v37, v15
	v_add_f32_e32 v8, v38, v16
	v_sub_f32_e32 v11, v37, v15
	v_sub_f32_e32 v12, v38, v16
	v_add_f32_e32 v13, v27, v17
	v_add_f32_e32 v14, v28, v18
	v_sub_f32_e32 v15, v27, v17
	v_sub_f32_e32 v16, v28, v18
	v_fmamk_f32 v17, v81, 0x3f5db3d7, v19
	v_fmac_f32_e32 v19, 0xbf5db3d7, v81
	v_add_f32_e32 v61, v30, v40
	v_sub_f32_e32 v59, v30, v40
	v_fmamk_f32 v30, v23, 0xbf5db3d7, v63
	v_fmamk_f32 v18, v35, 0xbf5db3d7, v32
	v_fmac_f32_e32 v32, 0x3f5db3d7, v35
	v_fmac_f32_e32 v63, 0x3f5db3d7, v23
	v_mul_f32_e32 v23, 0x3f5db3d7, v36
	v_mul_f32_e32 v27, 0xbf5db3d7, v33
	v_fmamk_f32 v38, v25, 0xbf5db3d7, v22
	v_fmac_f32_e32 v22, 0x3f5db3d7, v25
	v_mul_f32_e32 v25, -0.5, v56
	v_mul_f32_e32 v28, -0.5, v57
	v_fmamk_f32 v37, v62, 0x3f5db3d7, v34
	v_fmac_f32_e32 v34, 0xbf5db3d7, v62
	v_add_f32_e32 v60, v29, v39
	v_sub_f32_e32 v58, v29, v39
	v_mul_f32_e32 v29, 0x3f5db3d7, v24
	v_mul_f32_e32 v62, 0xbf5db3d7, v20
	v_mul_f32_e32 v39, -0.5, v9
	v_mul_f32_e32 v40, -0.5, v10
	v_fmamk_f32 v26, v78, 0x3f5db3d7, v0
	v_fmamk_f32 v35, v70, 0x3f5db3d7, v21
	v_fmac_f32_e32 v21, 0xbf5db3d7, v70
	v_mul_f32_e32 v68, -0.5, v19
	v_mul_f32_e32 v69, -0.5, v32
	v_mul_f32_e32 v70, 0x3f5db3d7, v18
	v_mul_f32_e32 v71, 0xbf5db3d7, v17
	v_fmac_f32_e32 v23, 0.5, v33
	v_fmac_f32_e32 v27, 0.5, v36
	v_fmac_f32_e32 v0, 0xbf5db3d7, v78
	v_fmac_f32_e32 v25, 0x3f5db3d7, v57
	;; [unrolled: 1-line block ×3, first 2 shown]
	v_fmac_f32_e32 v29, 0.5, v20
	v_fmac_f32_e32 v62, 0.5, v24
	v_fmac_f32_e32 v39, 0x3f5db3d7, v10
	v_fmac_f32_e32 v40, 0xbf5db3d7, v9
	v_fmac_f32_e32 v68, 0x3f5db3d7, v32
	v_fmac_f32_e32 v70, 0.5, v17
	v_fmac_f32_e32 v71, 0.5, v18
	v_fmac_f32_e32 v69, 0xbf5db3d7, v19
	v_add_f32_e32 v9, v26, v23
	v_add_f32_e32 v10, v31, v27
	v_add_f32_e32 v19, v0, v25
	v_add_f32_e32 v20, v1, v28
	v_sub_f32_e32 v17, v26, v23
	v_sub_f32_e32 v18, v31, v27
	v_sub_f32_e32 v23, v0, v25
	v_sub_f32_e32 v24, v1, v28
	v_add_f32_e32 v25, v37, v29
	v_add_f32_e32 v26, v30, v62
	v_add_f32_e32 v27, v34, v39
	v_add_f32_e32 v28, v63, v40
	v_sub_f32_e32 v29, v37, v29
	v_sub_f32_e32 v56, v34, v39
	v_sub_f32_e32 v30, v30, v62
	v_sub_f32_e32 v57, v63, v40
	;; [unrolled: 8-line block ×3, first 2 shown]
	ds_write2_b64 v42, v[7:8], v[9:10] offset1:1
	ds_write2_b64 v42, v[19:20], v[11:12] offset0:2 offset1:3
	ds_write2_b64 v42, v[17:18], v[23:24] offset0:4 offset1:5
	ds_write2_b64 v43, v[13:14], v[25:26] offset1:1
	ds_write2_b64 v3, v[27:28], v[15:16] offset1:1
	;; [unrolled: 1-line block ×6, first 2 shown]
	s_waitcnt lgkmcnt(0)
	s_barrier
	buffer_gl0_inv
	ds_read_b64 v[70:71], v73
	ds_read2_b64 v[24:27], v51 offset0:108 offset1:216
	ds_read2_b64 v[20:23], v6 offset0:68 offset1:176
	;; [unrolled: 1-line block ×5, first 2 shown]
                                        ; implicit-def: $vgpr69
                                        ; implicit-def: $vgpr7
                                        ; implicit-def: $vgpr3
	s_and_saveexec_b32 s1, s0
	s_cbranch_execz .LBB0_20
; %bb.19:
	ds_read2_b64 v[28:31], v51 offset0:66 offset1:174
	ds_read2_b64 v[32:35], v6 offset0:26 offset1:134
	;; [unrolled: 1-line block ×5, first 2 shown]
	ds_read_b64 v[68:69], v51 offset:9168
	s_waitcnt lgkmcnt(5)
	v_mov_b32_e32 v57, v29
	v_mov_b32_e32 v56, v28
	v_mov_b32_e32 v61, v31
	v_mov_b32_e32 v60, v30
	s_waitcnt lgkmcnt(4)
	v_mov_b32_e32 v67, v33
	v_mov_b32_e32 v66, v32
	v_mov_b32_e32 v65, v35
	v_mov_b32_e32 v64, v34
	s_waitcnt lgkmcnt(3)
	v_mov_b32_e32 v59, v37
	v_mov_b32_e32 v58, v36
	v_mov_b32_e32 v63, v39
	v_mov_b32_e32 v62, v38
.LBB0_20:
	s_or_b32 exec_lo, exec_lo, s1
	v_and_b32_e32 v28, 0xff, v50
	v_mov_b32_e32 v77, 10
	v_mul_lo_u16 v28, 0xab, v28
	v_lshrrev_b16 v75, 10, v28
	v_mul_lo_u16 v28, v75, 6
	v_and_b32_e32 v78, 0xffff, v75
	v_mov_b32_e32 v75, 3
	v_sub_nc_u16 v76, v50, v28
	v_mad_u32_u24 v78, 0x210, v78, 0
	v_mul_u32_u24_sdwa v28, v76, v77 dst_sel:DWORD dst_unused:UNUSED_PAD src0_sel:BYTE_0 src1_sel:DWORD
	v_lshlrev_b32_sdwa v79, v75, v76 dst_sel:DWORD dst_unused:UNUSED_PAD src0_sel:DWORD src1_sel:BYTE_0
	v_add_nc_u32_e32 v76, 0x42, v50
	v_lshlrev_b32_e32 v44, 3, v28
	v_add3_u32 v78, v78, v79, v74
	s_clause 0x4
	global_load_dwordx4 v[40:43], v44, s[12:13]
	global_load_dwordx4 v[36:39], v44, s[12:13] offset:16
	global_load_dwordx4 v[32:35], v44, s[12:13] offset:32
	;; [unrolled: 1-line block ×4, first 2 shown]
	s_waitcnt vmcnt(0) lgkmcnt(0)
	s_barrier
	buffer_gl0_inv
	v_mul_f32_e32 v79, v41, v25
	v_mul_f32_e32 v41, v41, v24
	;; [unrolled: 1-line block ×10, first 2 shown]
	v_fma_f32 v24, v40, v24, -v79
	v_fmac_f32_e32 v41, v40, v25
	v_mul_f32_e32 v81, v37, v21
	v_mul_f32_e32 v37, v37, v20
	;; [unrolled: 1-line block ×10, first 2 shown]
	v_fma_f32 v25, v42, v26, -v80
	v_fmac_f32_e32 v43, v42, v27
	v_fma_f32 v12, v28, v12, -v85
	v_fmac_f32_e32 v29, v28, v13
	v_fma_f32 v26, v8, v44, -v87
	v_fma_f32 v28, v10, v46, -v88
	v_fmac_f32_e32 v47, v11, v46
	v_fmac_f32_e32 v45, v9, v44
	v_add_f32_e32 v8, v24, v70
	v_add_f32_e32 v9, v41, v71
	v_fma_f32 v20, v36, v20, -v81
	v_fmac_f32_e32 v37, v36, v21
	v_fma_f32 v21, v38, v22, -v82
	v_fmac_f32_e32 v39, v38, v23
	;; [unrolled: 2-line block ×5, first 2 shown]
	v_sub_f32_e32 v14, v24, v28
	v_sub_f32_e32 v15, v41, v47
	v_add_f32_e32 v8, v8, v25
	v_add_f32_e32 v9, v9, v43
	;; [unrolled: 1-line block ×6, first 2 shown]
	v_sub_f32_e32 v22, v25, v26
	v_sub_f32_e32 v23, v43, v45
	;; [unrolled: 1-line block ×8, first 2 shown]
	v_mul_f32_e32 v25, 0xbf0a6770, v15
	v_mul_f32_e32 v43, 0xbf0a6770, v14
	;; [unrolled: 1-line block ×8, first 2 shown]
	v_add_f32_e32 v8, v8, v20
	v_add_f32_e32 v9, v9, v37
	v_mul_f32_e32 v15, 0xbe903f40, v15
	v_mul_f32_e32 v14, 0xbe903f40, v14
	v_add_f32_e32 v24, v20, v13
	v_add_f32_e32 v27, v37, v31
	;; [unrolled: 1-line block ×6, first 2 shown]
	v_mul_f32_e32 v85, 0xbf68dda4, v23
	v_mul_f32_e32 v86, 0xbf68dda4, v22
	;; [unrolled: 1-line block ×40, first 2 shown]
	v_fma_f32 v20, 0x3f575c64, v10, -v25
	v_fmamk_f32 v37, v11, 0x3f575c64, v43
	v_fmac_f32_e32 v25, 0x3f575c64, v10
	v_fma_f32 v43, 0x3f575c64, v11, -v43
	v_fma_f32 v117, 0x3ed4b147, v10, -v79
	v_fmamk_f32 v118, v11, 0x3ed4b147, v80
	v_fmac_f32_e32 v79, 0x3ed4b147, v10
	v_fma_f32 v80, 0x3ed4b147, v11, -v80
	;; [unrolled: 4-line block ×3, first 2 shown]
	v_fmamk_f32 v122, v11, 0xbf27a4f4, v84
	v_fmac_f32_e32 v83, 0xbf27a4f4, v10
	v_add_f32_e32 v8, v8, v21
	v_add_f32_e32 v9, v9, v39
	v_fma_f32 v82, 0xbe11bafb, v11, -v82
	v_fma_f32 v123, 0xbf75a155, v10, -v15
	v_fmamk_f32 v124, v11, 0xbf75a155, v14
	v_fma_f32 v84, 0xbf27a4f4, v11, -v84
	v_fmac_f32_e32 v15, 0xbf75a155, v10
	v_fma_f32 v10, 0xbf75a155, v11, -v14
	v_fma_f32 v11, 0x3ed4b147, v18, -v85
	v_fmamk_f32 v14, v19, 0x3ed4b147, v86
	v_fmac_f32_e32 v85, 0x3ed4b147, v18
	v_fma_f32 v86, 0x3ed4b147, v19, -v86
	v_fma_f32 v125, 0xbf27a4f4, v18, -v87
	v_fmamk_f32 v126, v19, 0xbf27a4f4, v88
	;; [unrolled: 4-line block ×5, first 2 shown]
	v_fmac_f32_e32 v23, 0x3f575c64, v18
	v_fma_f32 v18, 0x3f575c64, v19, -v22
	v_fma_f32 v19, 0xbe11bafb, v24, -v93
	v_fmac_f32_e32 v93, 0xbe11bafb, v24
	v_fma_f32 v22, 0xbf75a155, v24, -v95
	v_fmac_f32_e32 v95, 0xbf75a155, v24
	v_fma_f32 v133, 0x3ed4b147, v24, -v96
	v_fmac_f32_e32 v96, 0x3ed4b147, v24
	v_fma_f32 v134, 0x3f575c64, v24, -v97
	v_fmac_f32_e32 v97, 0x3f575c64, v24
	v_fma_f32 v135, 0xbf27a4f4, v24, -v32
	v_fmac_f32_e32 v32, 0xbf27a4f4, v24
	v_fmamk_f32 v24, v27, 0xbe11bafb, v94
	v_fma_f32 v94, 0xbe11bafb, v27, -v94
	v_fmamk_f32 v136, v27, 0xbf75a155, v98
	v_fma_f32 v98, 0xbf75a155, v27, -v98
	v_fmamk_f32 v137, v27, 0x3ed4b147, v99
	v_fma_f32 v99, 0x3ed4b147, v27, -v99
	v_fmamk_f32 v138, v27, 0x3f575c64, v100
	v_fma_f32 v100, 0x3f575c64, v27, -v100
	v_fmamk_f32 v139, v27, 0xbf27a4f4, v30
	v_fma_f32 v27, 0xbf27a4f4, v27, -v30
	v_fma_f32 v30, 0xbf27a4f4, v36, -v101
	v_fmac_f32_e32 v101, 0xbf27a4f4, v36
	v_fma_f32 v140, 0xbe11bafb, v36, -v102
	v_fmac_f32_e32 v102, 0xbe11bafb, v36
	v_fma_f32 v141, 0x3f575c64, v36, -v103
	v_fmac_f32_e32 v103, 0x3f575c64, v36
	v_fma_f32 v142, 0xbf75a155, v36, -v104
	v_fmac_f32_e32 v104, 0xbf75a155, v36
	v_fma_f32 v143, 0x3ed4b147, v36, -v34
	v_fmac_f32_e32 v34, 0x3ed4b147, v36
	v_fmamk_f32 v36, v40, 0xbf27a4f4, v105
	v_fma_f32 v105, 0xbf27a4f4, v40, -v105
	v_fmamk_f32 v144, v40, 0xbe11bafb, v106
	v_fma_f32 v106, 0xbe11bafb, v40, -v106
	v_fmamk_f32 v145, v40, 0x3f575c64, v107
	v_fma_f32 v107, 0x3f575c64, v40, -v107
	v_fmamk_f32 v146, v40, 0xbf75a155, v108
	v_fma_f32 v108, 0xbf75a155, v40, -v108
	v_fmamk_f32 v147, v40, 0x3ed4b147, v38
	;; [unrolled: 20-line block ×3, first 2 shown]
	v_fma_f32 v44, 0xbe11bafb, v46, -v44
	v_add_f32_e32 v20, v20, v70
	v_add_f32_e32 v37, v37, v71
	;; [unrolled: 1-line block ×112, first 2 shown]
	ds_write2_b64 v78, v[12:13], v[16:17] offset0:12 offset1:18
	ds_write2_b64 v78, v[20:21], v[24:25] offset0:24 offset1:30
	;; [unrolled: 1-line block ×4, first 2 shown]
	ds_write2_b64 v78, v[28:29], v[8:9] offset1:6
	ds_write_b64 v78, v[10:11] offset:480
	s_and_saveexec_b32 s1, s0
	s_cbranch_execz .LBB0_22
; %bb.21:
	v_and_b32_e32 v8, 0xff, v76
	v_mul_lo_u16 v8, 0xab, v8
	v_lshrrev_b16 v28, 10, v8
	v_mul_lo_u16 v8, v28, 6
	v_and_b32_e32 v28, 0xffff, v28
	v_sub_nc_u16 v29, v76, v8
	v_mad_u32_u24 v28, 0x210, v28, 0
	v_mul_u32_u24_sdwa v8, v29, v77 dst_sel:DWORD dst_unused:UNUSED_PAD src0_sel:BYTE_0 src1_sel:DWORD
	v_lshlrev_b32_sdwa v29, v75, v29 dst_sel:DWORD dst_unused:UNUSED_PAD src0_sel:DWORD src1_sel:BYTE_0
	v_lshlrev_b32_e32 v24, 3, v8
	v_add3_u32 v28, v28, v29, v74
	s_clause 0x4
	global_load_dwordx4 v[8:11], v24, s[12:13]
	global_load_dwordx4 v[12:15], v24, s[12:13] offset:64
	global_load_dwordx4 v[16:19], v24, s[12:13] offset:16
	;; [unrolled: 1-line block ×4, first 2 shown]
	s_waitcnt vmcnt(4)
	v_mul_f32_e32 v29, v61, v9
	s_waitcnt vmcnt(3)
	v_mul_f32_e32 v30, v69, v15
	v_mul_f32_e32 v31, v68, v15
	;; [unrolled: 1-line block ×7, first 2 shown]
	s_waitcnt vmcnt(2)
	v_mul_f32_e32 v13, v65, v17
	s_waitcnt vmcnt(1)
	v_mul_f32_e32 v34, v5, v23
	v_mul_f32_e32 v23, v4, v23
	v_mul_f32_e32 v17, v64, v17
	v_mul_f32_e32 v35, v59, v19
	v_mul_f32_e32 v36, v3, v21
	v_mul_f32_e32 v21, v2, v21
	v_mul_f32_e32 v19, v58, v19
	s_waitcnt vmcnt(0)
	v_mul_f32_e32 v37, v63, v25
	v_mul_f32_e32 v38, v1, v27
	;; [unrolled: 1-line block ×4, first 2 shown]
	v_fma_f32 v29, v60, v8, -v29
	v_fma_f32 v30, v68, v14, -v30
	v_fmac_f32_e32 v31, v69, v14
	v_fmac_f32_e32 v9, v61, v8
	v_fma_f32 v8, v66, v10, -v15
	v_fma_f32 v32, v6, v12, -v32
	v_fmac_f32_e32 v33, v7, v12
	v_fmac_f32_e32 v11, v67, v10
	;; [unrolled: 4-line block ×5, first 2 shown]
	v_sub_f32_e32 v1, v29, v30
	v_add_f32_e32 v5, v9, v31
	v_add_f32_e32 v22, v29, v30
	v_sub_f32_e32 v24, v9, v31
	v_add_f32_e32 v9, v57, v9
	v_add_f32_e32 v29, v56, v29
	v_sub_f32_e32 v7, v8, v32
	v_sub_f32_e32 v13, v6, v10
	;; [unrolled: 1-line block ×4, first 2 shown]
	v_add_f32_e32 v26, v8, v32
	v_sub_f32_e32 v34, v11, v33
	v_sub_f32_e32 v36, v17, v23
	;; [unrolled: 1-line block ×3, first 2 shown]
	v_mul_f32_e32 v41, 0xbe903f40, v1
	v_mul_f32_e32 v46, 0xbe903f40, v24
	;; [unrolled: 1-line block ×10, first 2 shown]
	v_add_f32_e32 v9, v9, v11
	v_add_f32_e32 v8, v29, v8
	v_add_f32_e32 v12, v11, v33
	v_add_f32_e32 v14, v17, v23
	v_add_f32_e32 v16, v19, v21
	v_add_f32_e32 v20, v25, v27
	v_add_f32_e32 v35, v6, v10
	v_add_f32_e32 v37, v4, v2
	v_mul_f32_e32 v42, 0x3f0a6770, v7
	v_mul_f32_e32 v43, 0xbf4178ce, v13
	;; [unrolled: 1-line block ×35, first 2 shown]
	v_fmamk_f32 v11, v5, 0xbf75a155, v41
	v_fma_f32 v99, 0xbf75a155, v22, -v46
	v_fmamk_f32 v104, v5, 0xbf27a4f4, v61
	v_fma_f32 v109, 0xbf27a4f4, v22, -v66
	v_fmamk_f32 v114, v5, 0xbe11bafb, v71
	v_fma_f32 v119, 0xbe11bafb, v22, -v81
	v_fmamk_f32 v124, v5, 0x3ed4b147, v86
	v_fma_f32 v129, 0x3ed4b147, v22, -v91
	v_fmamk_f32 v134, v5, 0x3f575c64, v1
	v_fma_f32 v139, 0x3f575c64, v22, -v24
	v_add_f32_e32 v9, v9, v17
	v_add_f32_e32 v6, v8, v6
	v_sub_f32_e32 v40, v25, v27
	v_fmamk_f32 v29, v12, 0x3f575c64, v42
	v_fmamk_f32 v96, v14, 0xbf27a4f4, v43
	v_fmamk_f32 v97, v16, 0x3ed4b147, v44
	v_fmamk_f32 v98, v20, 0xbe11bafb, v45
	v_fma_f32 v100, 0x3f575c64, v26, -v47
	v_fma_f32 v101, 0xbf27a4f4, v35, -v58
	v_fma_f32 v102, 0x3ed4b147, v37, -v59
	v_fmamk_f32 v105, v12, 0xbe11bafb, v62
	v_fmamk_f32 v106, v14, 0x3f575c64, v63
	v_fmamk_f32 v107, v16, 0xbf75a155, v64
	v_fmamk_f32 v108, v20, 0x3ed4b147, v65
	v_fma_f32 v110, 0xbe11bafb, v26, -v67
	v_fma_f32 v111, 0x3f575c64, v35, -v68
	v_fma_f32 v112, 0xbf75a155, v37, -v69
	;; [unrolled: 7-line block ×5, first 2 shown]
	v_fma_f32 v8, 0xbf75a155, v5, -v41
	v_fma_f32 v17, 0x3f575c64, v12, -v42
	v_fma_f32 v41, 0xbf27a4f4, v14, -v43
	v_fma_f32 v42, 0x3ed4b147, v16, -v44
	v_fma_f32 v43, 0xbe11bafb, v20, -v45
	v_fmac_f32_e32 v46, 0xbf75a155, v22
	v_fmac_f32_e32 v47, 0x3f575c64, v26
	v_fmac_f32_e32 v58, 0xbf27a4f4, v35
	v_fmac_f32_e32 v59, 0x3ed4b147, v37
	v_fma_f32 v44, 0xbf27a4f4, v5, -v61
	v_fma_f32 v45, 0xbe11bafb, v12, -v62
	v_fma_f32 v61, 0x3f575c64, v14, -v63
	v_fma_f32 v62, 0xbf75a155, v16, -v64
	v_fma_f32 v63, 0x3ed4b147, v20, -v65
	v_fmac_f32_e32 v66, 0xbf27a4f4, v22
	v_fmac_f32_e32 v67, 0xbe11bafb, v26
	v_fmac_f32_e32 v68, 0x3f575c64, v35
	v_fmac_f32_e32 v69, 0xbf75a155, v37
	;; [unrolled: 9-line block ×5, first 2 shown]
	v_add_f32_e32 v11, v57, v11
	v_add_f32_e32 v13, v56, v99
	;; [unrolled: 1-line block ×13, first 2 shown]
	v_mul_f32_e32 v60, 0xbf7d64f0, v40
	v_mul_f32_e32 v70, 0x3f68dda4, v40
	;; [unrolled: 1-line block ×5, first 2 shown]
	v_add_f32_e32 v6, v57, v8
	v_add_f32_e32 v8, v56, v46
	;; [unrolled: 1-line block ×16, first 2 shown]
	v_fma_f32 v103, 0xbe11bafb, v39, -v60
	v_fma_f32 v113, 0x3ed4b147, v39, -v70
	v_fma_f32 v123, 0xbf27a4f4, v39, -v85
	v_fma_f32 v133, 0x3f575c64, v39, -v95
	v_fma_f32 v143, 0xbf75a155, v39, -v40
	v_fmac_f32_e32 v60, 0xbe11bafb, v39
	v_fmac_f32_e32 v70, 0x3ed4b147, v39
	;; [unrolled: 1-line block ×5, first 2 shown]
	v_add_f32_e32 v19, v57, v44
	v_add_f32_e32 v39, v56, v66
	;; [unrolled: 1-line block ×86, first 2 shown]
	ds_write2_b64 v28, v[6:7], v[4:5] offset0:12 offset1:18
	ds_write2_b64 v28, v[2:3], v[0:1] offset0:24 offset1:30
	;; [unrolled: 1-line block ×4, first 2 shown]
	ds_write2_b64 v28, v[20:21], v[8:9] offset1:6
	ds_write_b64 v28, v[18:19] offset:480
.LBB0_22:
	s_or_b32 exec_lo, exec_lo, s1
	v_add_nc_u32_e32 v10, 0x84, v50
	v_add_nc_u32_e32 v9, 0xc6, v50
	v_mov_b32_e32 v2, 0xf83f
	v_add_nc_u32_e32 v11, 0x14a, v50
	v_add_nc_u32_e32 v3, 0x18c, v50
	v_and_b32_e32 v0, 0xff, v10
	v_add_nc_u32_e32 v4, 0x1ce, v50
	v_mul_u32_u24_sdwa v1, v9, v2 dst_sel:DWORD dst_unused:UNUSED_PAD src0_sel:WORD_0 src1_sel:DWORD
	v_add_nc_u32_e32 v5, 0x210, v50
	v_mul_u32_u24_sdwa v47, v11, v2 dst_sel:DWORD dst_unused:UNUSED_PAD src0_sel:WORD_0 src1_sel:DWORD
	v_mul_lo_u16 v0, 0xf9, v0
	s_waitcnt lgkmcnt(0)
	v_lshrrev_b32_e32 v6, 22, v1
	s_barrier
	buffer_gl0_inv
	v_lshrrev_b16 v7, 14, v0
	v_add_co_u32 v0, s0, s12, v54
	v_add_co_ci_u32_e64 v1, s0, s13, v55, s0
	v_mul_lo_u16 v7, 0x42, v7
	v_add_nc_u32_e32 v12, 0x108, v50
	v_lshrrev_b32_e32 v8, 22, v47
	global_load_dwordx2 v[45:46], v[0:1], off offset:480
	v_mul_u32_u24_sdwa v0, v3, v2 dst_sel:DWORD dst_unused:UNUSED_PAD src0_sel:WORD_0 src1_sel:DWORD
	v_sub_nc_u16 v1, v10, v7
	v_mul_u32_u24_sdwa v7, v4, v2 dst_sel:DWORD dst_unused:UNUSED_PAD src0_sel:WORD_0 src1_sel:DWORD
	v_mul_u32_u24_sdwa v13, v5, v2 dst_sel:DWORD dst_unused:UNUSED_PAD src0_sel:WORD_0 src1_sel:DWORD
	;; [unrolled: 1-line block ×3, first 2 shown]
	v_lshrrev_b32_e32 v0, 22, v0
	v_mul_lo_u16 v6, 0x42, v6
	v_lshrrev_b32_e32 v2, 22, v7
	v_mul_lo_u16 v7, 0x42, v8
	;; [unrolled: 2-line block ×4, first 2 shown]
	v_sub_nc_u16 v7, v11, v7
	v_mul_lo_u16 v8, 0x42, v8
	v_sub_nc_u16 v0, v3, v0
	v_mul_lo_u16 v3, 0x42, v13
	v_sub_nc_u16 v2, v4, v2
	v_lshlrev_b32_sdwa v82, v75, v7 dst_sel:DWORD dst_unused:UNUSED_PAD src0_sel:DWORD src1_sel:WORD_0
	v_sub_nc_u16 v4, v5, v8
	v_sub_nc_u16 v6, v9, v6
	v_lshlrev_b32_sdwa v83, v75, v0 dst_sel:DWORD dst_unused:UNUSED_PAD src0_sel:DWORD src1_sel:WORD_0
	v_sub_nc_u16 v0, v12, v3
	v_lshlrev_b32_sdwa v84, v75, v2 dst_sel:DWORD dst_unused:UNUSED_PAD src0_sel:DWORD src1_sel:WORD_0
	v_lshlrev_b32_sdwa v85, v75, v4 dst_sel:DWORD dst_unused:UNUSED_PAD src0_sel:DWORD src1_sel:WORD_0
	s_clause 0x1
	global_load_dwordx2 v[54:55], v82, s[12:13] offset:480
	global_load_dwordx2 v[56:57], v83, s[12:13] offset:480
	v_lshlrev_b32_sdwa v86, v75, v1 dst_sel:DWORD dst_unused:UNUSED_PAD src0_sel:DWORD src1_sel:BYTE_0
	s_clause 0x1
	global_load_dwordx2 v[58:59], v84, s[12:13] offset:480
	global_load_dwordx2 v[60:61], v85, s[12:13] offset:480
	v_lshlrev_b32_sdwa v87, v75, v6 dst_sel:DWORD dst_unused:UNUSED_PAD src0_sel:DWORD src1_sel:WORD_0
	v_lshlrev_b32_sdwa v88, v75, v0 dst_sel:DWORD dst_unused:UNUSED_PAD src0_sel:DWORD src1_sel:WORD_0
	s_clause 0x2
	global_load_dwordx2 v[62:63], v86, s[12:13] offset:480
	global_load_dwordx2 v[64:65], v87, s[12:13] offset:480
	;; [unrolled: 1-line block ×3, first 2 shown]
	v_add_nc_u32_e32 v2, 0x1000, v51
	v_add_nc_u32_e32 v3, 0x1400, v51
	;; [unrolled: 1-line block ×3, first 2 shown]
	ds_read2_b64 v[13:16], v51 offset0:66 offset1:132
	v_lshlrev_b32_e32 v0, 1, v50
	v_mov_b32_e32 v1, 0
	ds_read_b64 v[68:69], v73
	ds_read_b64 v[70:71], v51 offset:8976
	ds_read2_b64 v[17:20], v2 offset0:82 offset1:148
	ds_read2_b64 v[21:24], v3 offset0:86 offset1:152
	;; [unrolled: 1-line block ×3, first 2 shown]
	v_add_nc_u32_e32 v4, 0x1800, v51
	v_add_nc_u32_e32 v6, 0x800, v51
	;; [unrolled: 1-line block ×3, first 2 shown]
	v_lshlrev_b64 v[77:78], 3, v[0:1]
	v_lshlrev_b32_e32 v0, 1, v76
	v_add_nc_u32_e32 v5, 0xc00, v51
	ds_read2_b64 v[29:32], v4 offset0:90 offset1:156
	ds_read2_b64 v[33:36], v6 offset0:74 offset1:140
	;; [unrolled: 1-line block ×4, first 2 shown]
	s_waitcnt vmcnt(0) lgkmcnt(0)
	v_lshlrev_b64 v[79:80], 3, v[0:1]
	v_add_co_u32 v76, s0, s12, v77
	v_add_co_ci_u32_e64 v77, s0, s13, v78, s0
	v_lshrrev_b32_e32 v0, 23, v81
	v_add_co_u32 v78, s0, s12, v79
	v_add_co_ci_u32_e64 v79, s0, s13, v80, s0
	v_add3_u32 v80, 0, v87, v74
	v_add3_u32 v81, 0, v88, v74
	s_barrier
	buffer_gl0_inv
	v_add3_u32 v82, 0, v82, v74
	v_add3_u32 v83, 0, v83, v74
	;; [unrolled: 1-line block ×5, first 2 shown]
	v_lshrrev_b32_e32 v47, 23, v47
	v_add_nc_u32_e32 v82, 0x1000, v82
	v_add_nc_u32_e32 v83, 0x1800, v83
	v_mul_lo_u16 v0, 0x84, v0
	v_add_nc_u32_e32 v80, 0x800, v80
	v_add_nc_u32_e32 v81, 0x1000, v81
	v_mul_f32_e32 v87, v46, v18
	v_mul_f32_e32 v88, v46, v17
	;; [unrolled: 1-line block ×4, first 2 shown]
	v_fma_f32 v17, v45, v17, -v87
	v_fmac_f32_e32 v88, v45, v18
	v_fma_f32 v19, v45, v19, -v89
	v_fmac_f32_e32 v46, v45, v20
	v_sub_f32_e32 v17, v68, v17
	v_sub_f32_e32 v18, v69, v88
	;; [unrolled: 1-line block ×4, first 2 shown]
	v_fma_f32 v45, v68, 2.0, -v17
	v_fma_f32 v46, v69, 2.0, -v18
	v_fma_f32 v13, v13, 2.0, -v19
	v_fma_f32 v14, v14, 2.0, -v20
	ds_write2_b64 v51, v[45:46], v[17:18] offset1:66
	ds_write2_b64 v51, v[13:14], v[19:20] offset0:132 offset1:198
	v_add_nc_u32_e32 v68, 0x1800, v84
	v_add_nc_u32_e32 v69, 0x2000, v85
	v_add_nc_u32_e32 v84, 0x800, v86
	v_mul_f32_e32 v13, v32, v55
	v_mul_f32_e32 v14, v31, v55
	;; [unrolled: 1-line block ×14, first 2 shown]
	v_fma_f32 v13, v31, v54, -v13
	v_fmac_f32_e32 v14, v32, v54
	v_fma_f32 v17, v37, v56, -v17
	v_fmac_f32_e32 v18, v38, v56
	;; [unrolled: 2-line block ×7, first 2 shown]
	v_sub_f32_e32 v13, v33, v13
	v_sub_f32_e32 v14, v34, v14
	;; [unrolled: 1-line block ×14, first 2 shown]
	v_fma_f32 v33, v33, 2.0, -v13
	v_fma_f32 v34, v34, 2.0, -v14
	;; [unrolled: 1-line block ×14, first 2 shown]
	ds_write2_b64 v82, v[33:34], v[13:14] offset0:148 offset1:214
	ds_write2_b64 v83, v[35:36], v[17:18] offset0:24 offset1:90
	;; [unrolled: 1-line block ×7, first 2 shown]
	v_mul_lo_u16 v22, 0x84, v47
	v_mov_b32_e32 v21, 4
	v_sub_nc_u16 v31, v12, v0
	s_waitcnt lgkmcnt(0)
	s_barrier
	v_sub_nc_u16 v32, v11, v22
	buffer_gl0_inv
	v_lshlrev_b32_sdwa v0, v21, v31 dst_sel:DWORD dst_unused:UNUSED_PAD src0_sel:DWORD src1_sel:WORD_0
	s_clause 0x1
	global_load_dwordx4 v[13:16], v[76:77], off offset:1008
	global_load_dwordx4 v[17:20], v[78:79], off offset:1008
	v_lshlrev_b32_sdwa v25, v21, v32 dst_sel:DWORD dst_unused:UNUSED_PAD src0_sel:DWORD src1_sel:WORD_0
	s_clause 0x1
	global_load_dwordx4 v[21:24], v0, s[12:13] offset:1008
	global_load_dwordx4 v[25:28], v25, s[12:13] offset:1008
	v_lshlrev_b32_e32 v0, 1, v10
	v_add_co_u32 v45, s0, 0x800, v76
	v_add_co_ci_u32_e64 v46, s0, 0, v77, s0
	v_lshlrev_b64 v[29:30], 3, v[0:1]
	v_lshlrev_b32_e32 v0, 1, v9
	v_add_co_u32 v66, s0, 0x800, v78
	v_add_co_ci_u32_e64 v67, s0, 0, v79, s0
	v_lshlrev_b64 v[9:10], 3, v[0:1]
	v_lshlrev_b32_e32 v0, 1, v12
	v_add_co_u32 v12, s0, s12, v29
	v_add_co_ci_u32_e64 v29, s0, s13, v30, s0
	v_lshlrev_b32_sdwa v30, v75, v31 dst_sel:DWORD dst_unused:UNUSED_PAD src0_sel:DWORD src1_sel:WORD_0
	v_add_co_u32 v68, s0, 0x800, v12
	v_add_co_ci_u32_e64 v69, s0, 0, v29, s0
	v_lshlrev_b32_sdwa v31, v75, v32 dst_sel:DWORD dst_unused:UNUSED_PAD src0_sel:DWORD src1_sel:WORD_0
	v_add_co_u32 v29, s0, s12, v9
	v_lshlrev_b64 v[41:42], 3, v[0:1]
	v_add_co_ci_u32_e64 v32, s0, s13, v10, s0
	v_lshlrev_b32_e32 v0, 1, v11
	v_add3_u32 v47, 0, v30, v74
	v_add3_u32 v80, 0, v31, v74
	v_add_co_u32 v74, s0, 0x800, v29
	ds_read2_b64 v[9:12], v6 offset0:74 offset1:140
	v_add_co_ci_u32_e64 v75, s0, 0, v32, s0
	ds_read2_b64 v[29:32], v3 offset0:86 offset1:152
	ds_read2_b64 v[33:36], v5 offset0:78 offset1:144
	;; [unrolled: 1-line block ×3, first 2 shown]
	v_lshlrev_b64 v[70:71], 3, v[0:1]
	v_add_co_u32 v0, s0, s12, v41
	v_add_co_ci_u32_e64 v81, s0, s13, v42, s0
	ds_read2_b64 v[41:44], v51 offset0:66 offset1:132
	ds_read2_b64 v[54:57], v2 offset0:82 offset1:148
	;; [unrolled: 1-line block ×4, first 2 shown]
	ds_read_b64 v[76:77], v73
	ds_read_b64 v[78:79], v51 offset:8976
	v_add_nc_u32_e32 v82, 0x1800, v47
	v_add_nc_u32_e32 v83, 0x1800, v80
	s_waitcnt vmcnt(0) lgkmcnt(0)
	s_barrier
	buffer_gl0_inv
	v_mul_f32_e32 v84, v14, v12
	v_mul_f32_e32 v85, v14, v11
	v_mul_f32_e32 v86, v16, v32
	v_mul_f32_e32 v87, v16, v31
	v_mul_f32_e32 v88, v18, v34
	v_mul_f32_e32 v89, v18, v33
	v_mul_f32_e32 v90, v20, v38
	v_mul_f32_e32 v91, v20, v37
	v_mul_f32_e32 v92, v36, v14
	v_mul_f32_e32 v14, v35, v14
	v_mul_f32_e32 v93, v40, v16
	v_mul_f32_e32 v94, v39, v16
	v_mul_f32_e32 v16, v55, v18
	v_mul_f32_e32 v18, v54, v18
	v_mul_f32_e32 v95, v63, v20
	v_mul_f32_e32 v20, v62, v20
	v_mul_f32_e32 v96, v57, v22
	v_mul_f32_e32 v22, v56, v22
	v_mul_f32_e32 v97, v65, v24
	v_mul_f32_e32 v24, v64, v24
	v_mul_f32_e32 v98, v30, v26
	v_mul_f32_e32 v26, v29, v26
	v_mul_f32_e32 v99, v79, v28
	v_mul_f32_e32 v28, v78, v28
	v_fma_f32 v11, v13, v11, -v84
	v_fmac_f32_e32 v85, v13, v12
	v_fma_f32 v12, v15, v31, -v86
	v_fmac_f32_e32 v87, v15, v32
	;; [unrolled: 2-line block ×12, first 2 shown]
	v_add_f32_e32 v19, v11, v12
	v_add_f32_e32 v23, v85, v87
	;; [unrolled: 1-line block ×16, first 2 shown]
	v_sub_f32_e32 v29, v85, v87
	v_sub_f32_e32 v30, v11, v12
	v_add_f32_e32 v97, v10, v26
	v_fma_f32 v76, -0.5, v19, v76
	v_fmac_f32_e32 v77, -0.5, v23
	v_sub_f32_e32 v38, v89, v91
	v_sub_f32_e32 v31, v31, v32
	v_add_f32_e32 v85, v60, v15
	v_sub_f32_e32 v92, v15, v36
	v_add_f32_e32 v93, v9, v16
	v_sub_f32_e32 v99, v16, v25
	v_fma_f32 v15, -0.5, v37, v41
	v_fma_f32 v16, -0.5, v40, v42
	v_add_f32_e32 v54, v43, v33
	v_sub_f32_e32 v56, v14, v94
	v_add_f32_e32 v57, v44, v14
	v_sub_f32_e32 v33, v33, v34
	v_fma_f32 v43, -0.5, v55, v43
	v_fmac_f32_e32 v44, -0.5, v62
	v_add_f32_e32 v63, v58, v13
	v_sub_f32_e32 v65, v18, v20
	v_add_f32_e32 v78, v59, v18
	v_sub_f32_e32 v84, v13, v35
	v_sub_f32_e32 v88, v22, v24
	v_add_f32_e32 v89, v61, v22
	v_sub_f32_e32 v96, v26, v28
	v_add_f32_e32 v11, v17, v12
	v_add_f32_e32 v12, v21, v87
	;; [unrolled: 1-line block ×4, first 2 shown]
	v_fma_f32 v21, -0.5, v64, v58
	v_fma_f32 v22, -0.5, v79, v59
	v_fma_f32 v60, -0.5, v86, v60
	v_fmac_f32_e32 v61, -0.5, v90
	v_fma_f32 v9, -0.5, v95, v9
	v_fmac_f32_e32 v10, -0.5, v98
	v_add_f32_e32 v26, v97, v28
	v_fmamk_f32 v27, v29, 0x3f5db3d7, v76
	v_fmac_f32_e32 v76, 0xbf5db3d7, v29
	v_fmamk_f32 v28, v30, 0xbf5db3d7, v77
	v_fmac_f32_e32 v77, 0x3f5db3d7, v30
	;; [unrolled: 2-line block ×4, first 2 shown]
	v_add_f32_e32 v17, v54, v34
	v_add_f32_e32 v18, v57, v94
	v_fmamk_f32 v31, v56, 0x3f5db3d7, v43
	v_fmamk_f32 v32, v33, 0xbf5db3d7, v44
	v_add_f32_e32 v25, v93, v25
	v_fmac_f32_e32 v43, 0xbf5db3d7, v56
	v_fmac_f32_e32 v44, 0x3f5db3d7, v33
	v_add_f32_e32 v19, v63, v35
	v_add_f32_e32 v20, v78, v20
	;; [unrolled: 1-line block ×4, first 2 shown]
	v_fmamk_f32 v33, v65, 0x3f5db3d7, v21
	v_fmac_f32_e32 v21, 0xbf5db3d7, v65
	v_fmamk_f32 v34, v84, 0xbf5db3d7, v22
	v_fmac_f32_e32 v22, 0x3f5db3d7, v84
	;; [unrolled: 2-line block ×6, first 2 shown]
	ds_write2_b64 v51, v[11:12], v[13:14] offset1:66
	ds_write2_b64 v7, v[27:28], v[76:77] offset0:4 offset1:136
	ds_write2_b64 v7, v[29:30], v[15:16] offset0:70 offset1:202
	;; [unrolled: 1-line block ×3, first 2 shown]
	ds_write_b64 v51, v[43:44] offset:5280
	ds_write2_b64 v5, v[19:20], v[33:34] offset0:78 offset1:210
	ds_write_b64 v51, v[21:22] offset:5808
	ds_write2_b64 v82, v[23:24], v[35:36] offset0:24 offset1:156
	;; [unrolled: 2-line block ×3, first 2 shown]
	ds_write_b64 v80, v[9:10] offset:8448
	v_add_co_u32 v25, s0, 0x800, v0
	v_add_co_ci_u32_e64 v26, s0, 0, v81, s0
	v_add_co_u32 v0, s0, s12, v70
	v_add_co_ci_u32_e64 v27, s0, s13, v71, s0
	s_waitcnt lgkmcnt(0)
	v_add_co_u32 v29, s0, 0x800, v0
	v_add_co_ci_u32_e64 v30, s0, 0, v27, s0
	s_barrier
	buffer_gl0_inv
	s_clause 0x5
	global_load_dwordx4 v[9:12], v[45:46], off offset:1072
	global_load_dwordx4 v[13:16], v[66:67], off offset:1072
	;; [unrolled: 1-line block ×6, first 2 shown]
	ds_read2_b64 v[33:36], v6 offset0:74 offset1:140
	ds_read2_b64 v[37:40], v3 offset0:86 offset1:152
	;; [unrolled: 1-line block ×8, first 2 shown]
	ds_read_b64 v[7:8], v73
	ds_read_b64 v[45:46], v51 offset:8976
	v_add_nc_u32_e32 v0, 0x2000, v51
	s_waitcnt vmcnt(0) lgkmcnt(0)
	s_barrier
	buffer_gl0_inv
	v_mul_f32_e32 v47, v10, v36
	v_mul_f32_e32 v10, v10, v35
	;; [unrolled: 1-line block ×24, first 2 shown]
	v_fma_f32 v35, v9, v35, -v47
	v_fmac_f32_e32 v10, v9, v36
	v_fma_f32 v9, v11, v39, -v70
	v_fmac_f32_e32 v12, v11, v40
	v_fma_f32 v11, v13, v41, -v71
	v_fmac_f32_e32 v14, v13, v42
	v_fma_f32 v13, v15, v54, -v73
	v_fmac_f32_e32 v16, v15, v55
	v_fma_f32 v15, v43, v17, -v78
	v_fmac_f32_e32 v18, v44, v17
	v_fma_f32 v17, v56, v19, -v79
	v_fmac_f32_e32 v20, v57, v19
	v_fma_f32 v19, v62, v21, -v80
	v_fmac_f32_e32 v22, v63, v21
	v_fma_f32 v21, v74, v23, -v81
	v_fmac_f32_e32 v24, v75, v23
	v_fma_f32 v23, v64, v25, -v82
	v_fmac_f32_e32 v26, v65, v25
	v_fma_f32 v25, v76, v27, -v83
	v_fmac_f32_e32 v28, v77, v27
	v_fma_f32 v27, v37, v29, -v84
	v_fmac_f32_e32 v30, v38, v29
	v_fma_f32 v29, v45, v31, -v85
	v_fmac_f32_e32 v32, v46, v31
	v_add_f32_e32 v36, v35, v9
	v_add_f32_e32 v39, v10, v12
	;; [unrolled: 1-line block ×6, first 2 shown]
	v_sub_f32_e32 v42, v14, v16
	v_add_f32_e32 v43, v59, v14
	v_add_f32_e32 v14, v14, v16
	v_add_f32_e32 v46, v15, v17
	v_sub_f32_e32 v47, v18, v20
	v_add_f32_e32 v54, v61, v18
	v_add_f32_e32 v18, v18, v20
	v_add_f32_e32 v57, v19, v21
	;; [unrolled: 4-line block ×5, first 2 shown]
	v_add_f32_e32 v56, v66, v19
	v_add_f32_e32 v65, v68, v23
	v_sub_f32_e32 v74, v23, v25
	v_add_f32_e32 v23, v33, v27
	v_sub_f32_e32 v37, v10, v12
	v_sub_f32_e32 v35, v35, v9
	v_fma_f32 v7, -0.5, v36, v7
	v_fmac_f32_e32 v8, -0.5, v39
	v_sub_f32_e32 v44, v11, v13
	v_sub_f32_e32 v55, v15, v17
	;; [unrolled: 1-line block ×4, first 2 shown]
	v_add_f32_e32 v9, v31, v9
	v_add_f32_e32 v10, v38, v12
	;; [unrolled: 1-line block ×3, first 2 shown]
	v_fma_f32 v13, -0.5, v41, v58
	v_add_f32_e32 v12, v43, v16
	v_fma_f32 v14, -0.5, v14, v59
	v_fma_f32 v60, -0.5, v46, v60
	v_add_f32_e32 v16, v54, v20
	v_fmac_f32_e32 v61, -0.5, v18
	v_fma_f32 v19, -0.5, v57, v66
	v_fma_f32 v20, -0.5, v22, v67
	;; [unrolled: 1-line block ×3, first 2 shown]
	v_fmac_f32_e32 v69, -0.5, v26
	v_fma_f32 v33, -0.5, v75, v33
	v_fmac_f32_e32 v34, -0.5, v30
	v_add_f32_e32 v15, v45, v17
	v_add_f32_e32 v17, v56, v21
	;; [unrolled: 1-line block ×7, first 2 shown]
	v_fmamk_f32 v25, v37, 0x3f5db3d7, v7
	v_fmamk_f32 v26, v35, 0xbf5db3d7, v8
	v_fmac_f32_e32 v7, 0xbf5db3d7, v37
	v_fmac_f32_e32 v8, 0x3f5db3d7, v35
	v_fmamk_f32 v27, v42, 0x3f5db3d7, v13
	v_fmac_f32_e32 v13, 0xbf5db3d7, v42
	v_fmamk_f32 v28, v44, 0xbf5db3d7, v14
	;; [unrolled: 2-line block ×10, first 2 shown]
	v_fmac_f32_e32 v34, 0x3f5db3d7, v78
	ds_write2_b64 v51, v[9:10], v[11:12] offset1:66
	ds_write2_b64 v51, v[15:16], v[17:18] offset0:132 offset1:198
	ds_write2_b64 v6, v[21:22], v[23:24] offset0:8 offset1:74
	ds_write_b64 v51, v[25:26] offset:3168
	ds_write_b64 v51, v[7:8] offset:6336
	ds_write2_b64 v5, v[27:28], v[29:30] offset0:78 offset1:144
	ds_write2_b64 v4, v[60:61], v[19:20] offset0:156 offset1:222
	;; [unrolled: 1-line block ×5, first 2 shown]
	s_waitcnt lgkmcnt(0)
	s_barrier
	buffer_gl0_inv
	s_and_saveexec_b32 s0, vcc_lo
	s_cbranch_execz .LBB0_24
; %bb.23:
	v_mul_lo_u32 v0, s3, v52
	v_mul_lo_u32 v2, s2, v53
	v_mad_u64_u32 v[6:7], null, s2, v52, 0
	v_lshl_add_u32 v22, v50, 3, v72
	v_mov_b32_e32 v51, v1
	v_lshlrev_b64 v[10:11], 3, v[48:49]
	v_add_nc_u32_e32 v23, 0x800, v22
	v_add3_u32 v7, v7, v2, v0
	ds_read2_b64 v[2:5], v22 offset1:66
	v_add_nc_u32_e32 v0, 0x42, v50
	v_lshlrev_b64 v[12:13], 3, v[50:51]
	v_add_nc_u32_e32 v26, 0x1000, v22
	v_lshlrev_b64 v[14:15], 3, v[6:7]
	ds_read2_b64 v[6:9], v22 offset0:132 offset1:198
	v_lshlrev_b64 v[16:17], 3, v[0:1]
	v_add_nc_u32_e32 v0, 0x84, v50
	v_add_co_u32 v18, vcc_lo, s10, v14
	v_add_co_ci_u32_e32 v19, vcc_lo, s11, v15, vcc_lo
	v_lshlrev_b64 v[14:15], 3, v[0:1]
	v_add_co_u32 v24, vcc_lo, v18, v10
	v_add_co_ci_u32_e32 v25, vcc_lo, v19, v11, vcc_lo
	v_add_nc_u32_e32 v0, 0xc6, v50
	v_add_co_u32 v10, vcc_lo, v24, v12
	v_add_co_ci_u32_e32 v11, vcc_lo, v25, v13, vcc_lo
	v_add_co_u32 v16, vcc_lo, v24, v16
	v_add_co_ci_u32_e32 v17, vcc_lo, v25, v17, vcc_lo
	s_waitcnt lgkmcnt(1)
	global_store_dwordx2 v[10:11], v[2:3], off
	ds_read2_b64 v[10:13], v23 offset0:8 offset1:74
	v_lshlrev_b64 v[2:3], 3, v[0:1]
	v_add_nc_u32_e32 v0, 0x108, v50
	v_add_co_u32 v14, vcc_lo, v24, v14
	v_add_co_ci_u32_e32 v15, vcc_lo, v25, v15, vcc_lo
	v_lshlrev_b64 v[18:19], 3, v[0:1]
	v_add_nc_u32_e32 v0, 0x14a, v50
	v_add_co_u32 v2, vcc_lo, v24, v2
	v_add_co_ci_u32_e32 v3, vcc_lo, v25, v3, vcc_lo
	;; [unrolled: 4-line block ×3, first 2 shown]
	global_store_dwordx2 v[16:17], v[4:5], off
	s_waitcnt lgkmcnt(1)
	global_store_dwordx2 v[14:15], v[6:7], off
	global_store_dwordx2 v[2:3], v[8:9], off
	s_waitcnt lgkmcnt(0)
	global_store_dwordx2 v[18:19], v[10:11], off
	v_lshlrev_b64 v[10:11], 3, v[0:1]
	v_add_nc_u32_e32 v0, 0x1ce, v50
	ds_read2_b64 v[2:5], v23 offset0:140 offset1:206
	ds_read2_b64 v[6:9], v26 offset0:16 offset1:82
	v_add_co_u32 v14, vcc_lo, v24, v20
	v_lshlrev_b64 v[16:17], 3, v[0:1]
	v_add_nc_u32_e32 v0, 0x210, v50
	v_add_co_ci_u32_e32 v15, vcc_lo, v25, v21, vcc_lo
	v_add_co_u32 v10, vcc_lo, v24, v10
	v_lshlrev_b64 v[18:19], 3, v[0:1]
	v_add_nc_u32_e32 v0, 0x252, v50
	v_add_co_ci_u32_e32 v11, vcc_lo, v25, v11, vcc_lo
	v_add_co_u32 v16, vcc_lo, v24, v16
	v_add_co_ci_u32_e32 v17, vcc_lo, v25, v17, vcc_lo
	v_lshlrev_b64 v[20:21], 3, v[0:1]
	v_add_nc_u32_e32 v0, 0x294, v50
	v_add_co_u32 v18, vcc_lo, v24, v18
	v_add_co_ci_u32_e32 v19, vcc_lo, v25, v19, vcc_lo
	v_add_nc_u32_e32 v23, 0x1800, v22
	global_store_dwordx2 v[14:15], v[12:13], off
	s_waitcnt lgkmcnt(1)
	global_store_dwordx2 v[10:11], v[2:3], off
	global_store_dwordx2 v[16:17], v[4:5], off
	s_waitcnt lgkmcnt(0)
	global_store_dwordx2 v[18:19], v[6:7], off
	v_lshlrev_b64 v[6:7], 3, v[0:1]
	v_add_nc_u32_e32 v0, 0x2d6, v50
	ds_read2_b64 v[2:5], v26 offset0:148 offset1:214
	ds_read2_b64 v[10:13], v23 offset0:24 offset1:90
	v_add_co_u32 v14, vcc_lo, v24, v20
	v_lshlrev_b64 v[16:17], 3, v[0:1]
	v_add_nc_u32_e32 v0, 0x318, v50
	v_add_co_ci_u32_e32 v15, vcc_lo, v25, v21, vcc_lo
	v_add_co_u32 v6, vcc_lo, v24, v6
	v_lshlrev_b64 v[18:19], 3, v[0:1]
	v_add_nc_u32_e32 v0, 0x35a, v50
	v_add_co_ci_u32_e32 v7, vcc_lo, v25, v7, vcc_lo
	v_add_co_u32 v16, vcc_lo, v24, v16
	v_add_co_ci_u32_e32 v17, vcc_lo, v25, v17, vcc_lo
	v_lshlrev_b64 v[20:21], 3, v[0:1]
	v_add_nc_u32_e32 v0, 0x39c, v50
	v_add_co_u32 v18, vcc_lo, v24, v18
	v_add_co_ci_u32_e32 v19, vcc_lo, v25, v19, vcc_lo
	global_store_dwordx2 v[14:15], v[8:9], off
	s_waitcnt lgkmcnt(1)
	global_store_dwordx2 v[6:7], v[2:3], off
	global_store_dwordx2 v[16:17], v[4:5], off
	s_waitcnt lgkmcnt(0)
	global_store_dwordx2 v[18:19], v[10:11], off
	v_lshlrev_b64 v[10:11], 3, v[0:1]
	v_add_nc_u32_e32 v0, 0x3de, v50
	v_add_nc_u32_e32 v6, 0x2000, v22
	ds_read2_b64 v[2:5], v23 offset0:156 offset1:222
	v_add_co_u32 v14, vcc_lo, v24, v20
	v_lshlrev_b64 v[16:17], 3, v[0:1]
	v_add_nc_u32_e32 v0, 0x420, v50
	ds_read2_b64 v[6:9], v6 offset0:32 offset1:98
	v_add_co_ci_u32_e32 v15, vcc_lo, v25, v21, vcc_lo
	v_add_co_u32 v10, vcc_lo, v24, v10
	v_lshlrev_b64 v[18:19], 3, v[0:1]
	v_add_nc_u32_e32 v0, 0x462, v50
	v_add_co_ci_u32_e32 v11, vcc_lo, v25, v11, vcc_lo
	v_add_co_u32 v16, vcc_lo, v24, v16
	v_lshlrev_b64 v[0:1], 3, v[0:1]
	v_add_co_ci_u32_e32 v17, vcc_lo, v25, v17, vcc_lo
	v_add_co_u32 v18, vcc_lo, v24, v18
	v_add_co_ci_u32_e32 v19, vcc_lo, v25, v19, vcc_lo
	v_add_co_u32 v0, vcc_lo, v24, v0
	v_add_co_ci_u32_e32 v1, vcc_lo, v25, v1, vcc_lo
	global_store_dwordx2 v[14:15], v[12:13], off
	s_waitcnt lgkmcnt(1)
	global_store_dwordx2 v[10:11], v[2:3], off
	global_store_dwordx2 v[16:17], v[4:5], off
	s_waitcnt lgkmcnt(0)
	global_store_dwordx2 v[18:19], v[6:7], off
	global_store_dwordx2 v[0:1], v[8:9], off
.LBB0_24:
	s_endpgm
	.section	.rodata,"a",@progbits
	.p2align	6, 0x0
	.amdhsa_kernel fft_rtc_fwd_len1188_factors_6_11_2_3_3_wgs_198_tpt_66_halfLds_sp_op_CI_CI_unitstride_sbrr_C2R_dirReg
		.amdhsa_group_segment_fixed_size 0
		.amdhsa_private_segment_fixed_size 0
		.amdhsa_kernarg_size 104
		.amdhsa_user_sgpr_count 6
		.amdhsa_user_sgpr_private_segment_buffer 1
		.amdhsa_user_sgpr_dispatch_ptr 0
		.amdhsa_user_sgpr_queue_ptr 0
		.amdhsa_user_sgpr_kernarg_segment_ptr 1
		.amdhsa_user_sgpr_dispatch_id 0
		.amdhsa_user_sgpr_flat_scratch_init 0
		.amdhsa_user_sgpr_private_segment_size 0
		.amdhsa_wavefront_size32 1
		.amdhsa_uses_dynamic_stack 0
		.amdhsa_system_sgpr_private_segment_wavefront_offset 0
		.amdhsa_system_sgpr_workgroup_id_x 1
		.amdhsa_system_sgpr_workgroup_id_y 0
		.amdhsa_system_sgpr_workgroup_id_z 0
		.amdhsa_system_sgpr_workgroup_info 0
		.amdhsa_system_vgpr_workitem_id 0
		.amdhsa_next_free_vgpr 156
		.amdhsa_next_free_sgpr 27
		.amdhsa_reserve_vcc 1
		.amdhsa_reserve_flat_scratch 0
		.amdhsa_float_round_mode_32 0
		.amdhsa_float_round_mode_16_64 0
		.amdhsa_float_denorm_mode_32 3
		.amdhsa_float_denorm_mode_16_64 3
		.amdhsa_dx10_clamp 1
		.amdhsa_ieee_mode 1
		.amdhsa_fp16_overflow 0
		.amdhsa_workgroup_processor_mode 1
		.amdhsa_memory_ordered 1
		.amdhsa_forward_progress 0
		.amdhsa_shared_vgpr_count 0
		.amdhsa_exception_fp_ieee_invalid_op 0
		.amdhsa_exception_fp_denorm_src 0
		.amdhsa_exception_fp_ieee_div_zero 0
		.amdhsa_exception_fp_ieee_overflow 0
		.amdhsa_exception_fp_ieee_underflow 0
		.amdhsa_exception_fp_ieee_inexact 0
		.amdhsa_exception_int_div_zero 0
	.end_amdhsa_kernel
	.text
.Lfunc_end0:
	.size	fft_rtc_fwd_len1188_factors_6_11_2_3_3_wgs_198_tpt_66_halfLds_sp_op_CI_CI_unitstride_sbrr_C2R_dirReg, .Lfunc_end0-fft_rtc_fwd_len1188_factors_6_11_2_3_3_wgs_198_tpt_66_halfLds_sp_op_CI_CI_unitstride_sbrr_C2R_dirReg
                                        ; -- End function
	.section	.AMDGPU.csdata,"",@progbits
; Kernel info:
; codeLenInByte = 13572
; NumSgprs: 29
; NumVgprs: 156
; ScratchSize: 0
; MemoryBound: 0
; FloatMode: 240
; IeeeMode: 1
; LDSByteSize: 0 bytes/workgroup (compile time only)
; SGPRBlocks: 3
; VGPRBlocks: 19
; NumSGPRsForWavesPerEU: 29
; NumVGPRsForWavesPerEU: 156
; Occupancy: 6
; WaveLimiterHint : 1
; COMPUTE_PGM_RSRC2:SCRATCH_EN: 0
; COMPUTE_PGM_RSRC2:USER_SGPR: 6
; COMPUTE_PGM_RSRC2:TRAP_HANDLER: 0
; COMPUTE_PGM_RSRC2:TGID_X_EN: 1
; COMPUTE_PGM_RSRC2:TGID_Y_EN: 0
; COMPUTE_PGM_RSRC2:TGID_Z_EN: 0
; COMPUTE_PGM_RSRC2:TIDIG_COMP_CNT: 0
	.text
	.p2alignl 6, 3214868480
	.fill 48, 4, 3214868480
	.type	__hip_cuid_2c69d1b064380881,@object ; @__hip_cuid_2c69d1b064380881
	.section	.bss,"aw",@nobits
	.globl	__hip_cuid_2c69d1b064380881
__hip_cuid_2c69d1b064380881:
	.byte	0                               ; 0x0
	.size	__hip_cuid_2c69d1b064380881, 1

	.ident	"AMD clang version 19.0.0git (https://github.com/RadeonOpenCompute/llvm-project roc-6.4.0 25133 c7fe45cf4b819c5991fe208aaa96edf142730f1d)"
	.section	".note.GNU-stack","",@progbits
	.addrsig
	.addrsig_sym __hip_cuid_2c69d1b064380881
	.amdgpu_metadata
---
amdhsa.kernels:
  - .args:
      - .actual_access:  read_only
        .address_space:  global
        .offset:         0
        .size:           8
        .value_kind:     global_buffer
      - .offset:         8
        .size:           8
        .value_kind:     by_value
      - .actual_access:  read_only
        .address_space:  global
        .offset:         16
        .size:           8
        .value_kind:     global_buffer
      - .actual_access:  read_only
        .address_space:  global
        .offset:         24
        .size:           8
        .value_kind:     global_buffer
      - .actual_access:  read_only
        .address_space:  global
        .offset:         32
        .size:           8
        .value_kind:     global_buffer
      - .offset:         40
        .size:           8
        .value_kind:     by_value
      - .actual_access:  read_only
        .address_space:  global
        .offset:         48
        .size:           8
        .value_kind:     global_buffer
      - .actual_access:  read_only
        .address_space:  global
        .offset:         56
        .size:           8
        .value_kind:     global_buffer
      - .offset:         64
        .size:           4
        .value_kind:     by_value
      - .actual_access:  read_only
        .address_space:  global
        .offset:         72
        .size:           8
        .value_kind:     global_buffer
      - .actual_access:  read_only
        .address_space:  global
        .offset:         80
        .size:           8
        .value_kind:     global_buffer
      - .actual_access:  read_only
        .address_space:  global
        .offset:         88
        .size:           8
        .value_kind:     global_buffer
      - .actual_access:  write_only
        .address_space:  global
        .offset:         96
        .size:           8
        .value_kind:     global_buffer
    .group_segment_fixed_size: 0
    .kernarg_segment_align: 8
    .kernarg_segment_size: 104
    .language:       OpenCL C
    .language_version:
      - 2
      - 0
    .max_flat_workgroup_size: 198
    .name:           fft_rtc_fwd_len1188_factors_6_11_2_3_3_wgs_198_tpt_66_halfLds_sp_op_CI_CI_unitstride_sbrr_C2R_dirReg
    .private_segment_fixed_size: 0
    .sgpr_count:     29
    .sgpr_spill_count: 0
    .symbol:         fft_rtc_fwd_len1188_factors_6_11_2_3_3_wgs_198_tpt_66_halfLds_sp_op_CI_CI_unitstride_sbrr_C2R_dirReg.kd
    .uniform_work_group_size: 1
    .uses_dynamic_stack: false
    .vgpr_count:     156
    .vgpr_spill_count: 0
    .wavefront_size: 32
    .workgroup_processor_mode: 1
amdhsa.target:   amdgcn-amd-amdhsa--gfx1030
amdhsa.version:
  - 1
  - 2
...

	.end_amdgpu_metadata
